;; amdgpu-corpus repo=ROCm/rocFFT kind=compiled arch=gfx906 opt=O3
	.text
	.amdgcn_target "amdgcn-amd-amdhsa--gfx906"
	.amdhsa_code_object_version 6
	.protected	fft_rtc_fwd_len400_factors_4_10_10_wgs_120_tpt_40_halfLds_sp_ip_CI_unitstride_sbrr_R2C_dirReg ; -- Begin function fft_rtc_fwd_len400_factors_4_10_10_wgs_120_tpt_40_halfLds_sp_ip_CI_unitstride_sbrr_R2C_dirReg
	.globl	fft_rtc_fwd_len400_factors_4_10_10_wgs_120_tpt_40_halfLds_sp_ip_CI_unitstride_sbrr_R2C_dirReg
	.p2align	8
	.type	fft_rtc_fwd_len400_factors_4_10_10_wgs_120_tpt_40_halfLds_sp_ip_CI_unitstride_sbrr_R2C_dirReg,@function
fft_rtc_fwd_len400_factors_4_10_10_wgs_120_tpt_40_halfLds_sp_ip_CI_unitstride_sbrr_R2C_dirReg: ; @fft_rtc_fwd_len400_factors_4_10_10_wgs_120_tpt_40_halfLds_sp_ip_CI_unitstride_sbrr_R2C_dirReg
; %bb.0:
	s_load_dwordx2 s[2:3], s[4:5], 0x50
	s_load_dwordx4 s[8:11], s[4:5], 0x0
	s_load_dwordx2 s[12:13], s[4:5], 0x18
	v_mul_u32_u24_e32 v1, 0x667, v0
	v_lshrrev_b32_e32 v1, 16, v1
	v_mad_u64_u32 v[1:2], s[0:1], s6, 3, v[1:2]
	v_mov_b32_e32 v5, 0
	s_waitcnt lgkmcnt(0)
	v_cmp_lt_u64_e64 s[0:1], s[10:11], 2
	v_mov_b32_e32 v2, v5
	v_mov_b32_e32 v3, 0
	;; [unrolled: 1-line block ×3, first 2 shown]
	s_and_b64 vcc, exec, s[0:1]
	v_mov_b32_e32 v4, 0
	v_mov_b32_e32 v9, v1
	s_cbranch_vccnz .LBB0_8
; %bb.1:
	s_load_dwordx2 s[0:1], s[4:5], 0x10
	s_add_u32 s6, s12, 8
	s_addc_u32 s7, s13, 0
	v_mov_b32_e32 v3, 0
	v_mov_b32_e32 v8, v2
	s_waitcnt lgkmcnt(0)
	s_add_u32 s16, s0, 8
	s_mov_b64 s[14:15], 1
	v_mov_b32_e32 v4, 0
	s_addc_u32 s17, s1, 0
	v_mov_b32_e32 v7, v1
.LBB0_2:                                ; =>This Inner Loop Header: Depth=1
	s_load_dwordx2 s[18:19], s[16:17], 0x0
                                        ; implicit-def: $vgpr9_vgpr10
	s_waitcnt lgkmcnt(0)
	v_or_b32_e32 v6, s19, v8
	v_cmp_ne_u64_e32 vcc, 0, v[5:6]
	s_and_saveexec_b64 s[0:1], vcc
	s_xor_b64 s[20:21], exec, s[0:1]
	s_cbranch_execz .LBB0_4
; %bb.3:                                ;   in Loop: Header=BB0_2 Depth=1
	v_cvt_f32_u32_e32 v2, s18
	v_cvt_f32_u32_e32 v6, s19
	s_sub_u32 s0, 0, s18
	s_subb_u32 s1, 0, s19
	v_mac_f32_e32 v2, 0x4f800000, v6
	v_rcp_f32_e32 v2, v2
	v_mul_f32_e32 v2, 0x5f7ffffc, v2
	v_mul_f32_e32 v6, 0x2f800000, v2
	v_trunc_f32_e32 v6, v6
	v_mac_f32_e32 v2, 0xcf800000, v6
	v_cvt_u32_f32_e32 v6, v6
	v_cvt_u32_f32_e32 v2, v2
	v_mul_lo_u32 v9, s0, v6
	v_mul_hi_u32 v10, s0, v2
	v_mul_lo_u32 v12, s1, v2
	v_mul_lo_u32 v11, s0, v2
	v_add_u32_e32 v9, v10, v9
	v_add_u32_e32 v9, v9, v12
	v_mul_hi_u32 v10, v2, v11
	v_mul_lo_u32 v12, v2, v9
	v_mul_hi_u32 v14, v2, v9
	v_mul_hi_u32 v13, v6, v11
	v_mul_lo_u32 v11, v6, v11
	v_mul_hi_u32 v15, v6, v9
	v_add_co_u32_e32 v10, vcc, v10, v12
	v_addc_co_u32_e32 v12, vcc, 0, v14, vcc
	v_mul_lo_u32 v9, v6, v9
	v_add_co_u32_e32 v10, vcc, v10, v11
	v_addc_co_u32_e32 v10, vcc, v12, v13, vcc
	v_addc_co_u32_e32 v11, vcc, 0, v15, vcc
	v_add_co_u32_e32 v9, vcc, v10, v9
	v_addc_co_u32_e32 v10, vcc, 0, v11, vcc
	v_add_co_u32_e32 v2, vcc, v2, v9
	v_addc_co_u32_e32 v6, vcc, v6, v10, vcc
	v_mul_lo_u32 v9, s0, v6
	v_mul_hi_u32 v10, s0, v2
	v_mul_lo_u32 v11, s1, v2
	v_mul_lo_u32 v12, s0, v2
	v_add_u32_e32 v9, v10, v9
	v_add_u32_e32 v9, v9, v11
	v_mul_lo_u32 v13, v2, v9
	v_mul_hi_u32 v14, v2, v12
	v_mul_hi_u32 v15, v2, v9
	;; [unrolled: 1-line block ×3, first 2 shown]
	v_mul_lo_u32 v12, v6, v12
	v_mul_hi_u32 v10, v6, v9
	v_add_co_u32_e32 v13, vcc, v14, v13
	v_addc_co_u32_e32 v14, vcc, 0, v15, vcc
	v_mul_lo_u32 v9, v6, v9
	v_add_co_u32_e32 v12, vcc, v13, v12
	v_addc_co_u32_e32 v11, vcc, v14, v11, vcc
	v_addc_co_u32_e32 v10, vcc, 0, v10, vcc
	v_add_co_u32_e32 v9, vcc, v11, v9
	v_addc_co_u32_e32 v10, vcc, 0, v10, vcc
	v_add_co_u32_e32 v2, vcc, v2, v9
	v_addc_co_u32_e32 v6, vcc, v6, v10, vcc
	v_mad_u64_u32 v[9:10], s[0:1], v7, v6, 0
	v_mul_hi_u32 v11, v7, v2
	v_add_co_u32_e32 v13, vcc, v11, v9
	v_addc_co_u32_e32 v14, vcc, 0, v10, vcc
	v_mad_u64_u32 v[9:10], s[0:1], v8, v2, 0
	v_mad_u64_u32 v[11:12], s[0:1], v8, v6, 0
	v_add_co_u32_e32 v2, vcc, v13, v9
	v_addc_co_u32_e32 v2, vcc, v14, v10, vcc
	v_addc_co_u32_e32 v6, vcc, 0, v12, vcc
	v_add_co_u32_e32 v2, vcc, v2, v11
	v_addc_co_u32_e32 v6, vcc, 0, v6, vcc
	v_mul_lo_u32 v11, s19, v2
	v_mul_lo_u32 v12, s18, v6
	v_mad_u64_u32 v[9:10], s[0:1], s18, v2, 0
	v_add3_u32 v10, v10, v12, v11
	v_sub_u32_e32 v11, v8, v10
	v_mov_b32_e32 v12, s19
	v_sub_co_u32_e32 v9, vcc, v7, v9
	v_subb_co_u32_e64 v11, s[0:1], v11, v12, vcc
	v_subrev_co_u32_e64 v12, s[0:1], s18, v9
	v_subbrev_co_u32_e64 v11, s[0:1], 0, v11, s[0:1]
	v_cmp_le_u32_e64 s[0:1], s19, v11
	v_cndmask_b32_e64 v13, 0, -1, s[0:1]
	v_cmp_le_u32_e64 s[0:1], s18, v12
	v_cndmask_b32_e64 v12, 0, -1, s[0:1]
	v_cmp_eq_u32_e64 s[0:1], s19, v11
	v_cndmask_b32_e64 v11, v13, v12, s[0:1]
	v_add_co_u32_e64 v12, s[0:1], 2, v2
	v_addc_co_u32_e64 v13, s[0:1], 0, v6, s[0:1]
	v_add_co_u32_e64 v14, s[0:1], 1, v2
	v_addc_co_u32_e64 v15, s[0:1], 0, v6, s[0:1]
	v_subb_co_u32_e32 v10, vcc, v8, v10, vcc
	v_cmp_ne_u32_e64 s[0:1], 0, v11
	v_cmp_le_u32_e32 vcc, s19, v10
	v_cndmask_b32_e64 v11, v15, v13, s[0:1]
	v_cndmask_b32_e64 v13, 0, -1, vcc
	v_cmp_le_u32_e32 vcc, s18, v9
	v_cndmask_b32_e64 v9, 0, -1, vcc
	v_cmp_eq_u32_e32 vcc, s19, v10
	v_cndmask_b32_e32 v9, v13, v9, vcc
	v_cmp_ne_u32_e32 vcc, 0, v9
	v_cndmask_b32_e32 v10, v6, v11, vcc
	v_cndmask_b32_e64 v6, v14, v12, s[0:1]
	v_cndmask_b32_e32 v9, v2, v6, vcc
.LBB0_4:                                ;   in Loop: Header=BB0_2 Depth=1
	s_andn2_saveexec_b64 s[0:1], s[20:21]
	s_cbranch_execz .LBB0_6
; %bb.5:                                ;   in Loop: Header=BB0_2 Depth=1
	v_cvt_f32_u32_e32 v2, s18
	s_sub_i32 s20, 0, s18
	v_rcp_iflag_f32_e32 v2, v2
	v_mul_f32_e32 v2, 0x4f7ffffe, v2
	v_cvt_u32_f32_e32 v2, v2
	v_mul_lo_u32 v6, s20, v2
	v_mul_hi_u32 v6, v2, v6
	v_add_u32_e32 v2, v2, v6
	v_mul_hi_u32 v2, v7, v2
	v_mul_lo_u32 v6, v2, s18
	v_add_u32_e32 v9, 1, v2
	v_sub_u32_e32 v6, v7, v6
	v_subrev_u32_e32 v10, s18, v6
	v_cmp_le_u32_e32 vcc, s18, v6
	v_cndmask_b32_e32 v6, v6, v10, vcc
	v_cndmask_b32_e32 v2, v2, v9, vcc
	v_add_u32_e32 v9, 1, v2
	v_cmp_le_u32_e32 vcc, s18, v6
	v_cndmask_b32_e32 v9, v2, v9, vcc
	v_mov_b32_e32 v10, v5
.LBB0_6:                                ;   in Loop: Header=BB0_2 Depth=1
	s_or_b64 exec, exec, s[0:1]
	v_mul_lo_u32 v2, v10, s18
	v_mul_lo_u32 v6, v9, s19
	v_mad_u64_u32 v[11:12], s[0:1], v9, s18, 0
	s_load_dwordx2 s[0:1], s[6:7], 0x0
	s_add_u32 s14, s14, 1
	v_add3_u32 v2, v12, v6, v2
	v_sub_co_u32_e32 v6, vcc, v7, v11
	v_subb_co_u32_e32 v2, vcc, v8, v2, vcc
	s_waitcnt lgkmcnt(0)
	v_mul_lo_u32 v2, s0, v2
	v_mul_lo_u32 v7, s1, v6
	v_mad_u64_u32 v[3:4], s[0:1], s0, v6, v[3:4]
	s_addc_u32 s15, s15, 0
	s_add_u32 s6, s6, 8
	v_add3_u32 v4, v7, v4, v2
	v_mov_b32_e32 v6, s10
	v_mov_b32_e32 v7, s11
	s_addc_u32 s7, s7, 0
	v_cmp_ge_u64_e32 vcc, s[14:15], v[6:7]
	s_add_u32 s16, s16, 8
	s_addc_u32 s17, s17, 0
	s_cbranch_vccnz .LBB0_8
; %bb.7:                                ;   in Loop: Header=BB0_2 Depth=1
	v_mov_b32_e32 v7, v9
	v_mov_b32_e32 v8, v10
	s_branch .LBB0_2
.LBB0_8:
	s_lshl_b64 s[0:1], s[10:11], 3
	s_add_u32 s0, s12, s0
	s_addc_u32 s1, s13, s1
	s_load_dwordx2 s[0:1], s[0:1], 0x0
	s_mov_b32 s6, 0xaaaaaaab
	v_mul_hi_u32 v5, v1, s6
                                        ; implicit-def: $vgpr16
	s_waitcnt lgkmcnt(0)
	v_mul_lo_u32 v6, s0, v10
	v_mul_lo_u32 v7, s1, v9
	v_mad_u64_u32 v[2:3], s[0:1], s0, v9, v[3:4]
	s_load_dwordx2 s[0:1], s[4:5], 0x20
	s_mov_b32 s4, 0x6666667
	v_lshrrev_b32_e32 v4, 1, v5
	v_mul_hi_u32 v5, v0, s4
	v_lshl_add_u32 v4, v4, 1, v4
	v_sub_u32_e32 v1, v1, v4
	s_waitcnt lgkmcnt(0)
	v_cmp_gt_u64_e32 vcc, s[0:1], v[9:10]
	v_mul_u32_u24_e32 v4, 40, v5
	v_cmp_le_u64_e64 s[0:1], s[0:1], v[9:10]
	v_sub_u32_e32 v10, v0, v4
	v_add3_u32 v3, v7, v3, v6
	v_add_u32_e32 v14, 40, v10
	s_and_saveexec_b64 s[4:5], s[0:1]
	s_xor_b64 s[0:1], exec, s[4:5]
; %bb.9:
	v_add_u32_e32 v14, 40, v10
	v_add_u32_e32 v16, 0x50, v10
; %bb.10:
	s_or_saveexec_b64 s[4:5], s[0:1]
	v_mul_u32_u24_e32 v0, 0x191, v1
	v_lshlrev_b64 v[12:13], 3, v[2:3]
	v_lshlrev_b32_e32 v23, 3, v0
	v_lshlrev_b32_e32 v15, 3, v10
	s_xor_b64 exec, exec, s[4:5]
	s_cbranch_execz .LBB0_12
; %bb.11:
	v_mov_b32_e32 v11, 0
	v_mov_b32_e32 v0, s3
	v_add_co_u32_e64 v2, s[0:1], s2, v12
	v_addc_co_u32_e64 v3, s[0:1], v0, v13, s[0:1]
	v_lshlrev_b64 v[0:1], 3, v[10:11]
	v_add_u32_e32 v16, 0x50, v10
	v_add_co_u32_e64 v0, s[0:1], v2, v0
	v_addc_co_u32_e64 v1, s[0:1], v3, v1, s[0:1]
	global_load_dwordx2 v[2:3], v[0:1], off
	global_load_dwordx2 v[4:5], v[0:1], off offset:320
	global_load_dwordx2 v[6:7], v[0:1], off offset:640
	;; [unrolled: 1-line block ×9, first 2 shown]
	v_add3_u32 v0, 0, v23, v15
	v_add_u32_e32 v1, 0x400, v0
	v_add_u32_e32 v11, 0x800, v0
	s_waitcnt vmcnt(8)
	ds_write2_b64 v0, v[2:3], v[4:5] offset1:40
	s_waitcnt vmcnt(6)
	ds_write2_b64 v0, v[6:7], v[8:9] offset0:80 offset1:120
	s_waitcnt vmcnt(4)
	ds_write2_b64 v0, v[17:18], v[19:20] offset0:160 offset1:200
	;; [unrolled: 2-line block ×4, first 2 shown]
.LBB0_12:
	s_or_b64 exec, exec, s[4:5]
	v_add_u32_e32 v20, 0, v23
	v_add3_u32 v21, 0, v15, v23
	s_waitcnt lgkmcnt(0)
	s_barrier
	v_add_u32_e32 v19, v20, v15
	ds_read2_b64 v[0:3], v21 offset0:180 offset1:200
	ds_read_b64 v[4:5], v19
	ds_read2_b64 v[24:27], v21 offset0:100 offset1:140
	v_add_u32_e32 v11, 0x800, v21
	ds_read_b64 v[17:18], v21 offset:3040
	ds_read2_b64 v[28:31], v11 offset0:44 offset1:84
	v_add_u32_e32 v22, 0x400, v21
	s_waitcnt lgkmcnt(3)
	v_sub_f32_e32 v2, v4, v2
	v_sub_f32_e32 v3, v5, v3
	v_fma_f32 v4, v4, 2.0, -v2
	s_waitcnt lgkmcnt(0)
	v_sub_f32_e32 v6, v24, v28
	v_sub_f32_e32 v7, v25, v29
	v_fma_f32 v5, v5, 2.0, -v3
	v_fma_f32 v8, v24, 2.0, -v6
	;; [unrolled: 1-line block ×3, first 2 shown]
	v_sub_f32_e32 v24, v4, v8
	v_sub_f32_e32 v25, v5, v9
	;; [unrolled: 1-line block ×3, first 2 shown]
	v_add_f32_e32 v33, v3, v6
	v_fma_f32 v28, v4, 2.0, -v24
	v_fma_f32 v29, v5, 2.0, -v25
	;; [unrolled: 1-line block ×4, first 2 shown]
	ds_read2_b64 v[2:5], v21 offset0:40 offset1:80
	ds_read2_b64 v[6:9], v22 offset0:112 offset1:152
	v_mad_u32_u24 v36, v10, 24, v21
	s_waitcnt lgkmcnt(0)
	s_barrier
	ds_write2_b64 v36, v[28:29], v[34:35] offset1:1
	ds_write2_b64 v36, v[24:25], v[32:33] offset0:2 offset1:3
	v_sub_f32_e32 v28, v26, v30
	v_sub_f32_e32 v30, v2, v6
	;; [unrolled: 1-line block ×3, first 2 shown]
	v_fma_f32 v24, v26, 2.0, -v28
	v_sub_f32_e32 v31, v3, v7
	v_fma_f32 v2, v2, 2.0, -v30
	v_fma_f32 v25, v27, 2.0, -v29
	;; [unrolled: 1-line block ×3, first 2 shown]
	v_sub_f32_e32 v6, v2, v24
	v_sub_f32_e32 v7, v3, v25
	v_fma_f32 v24, v2, 2.0, -v6
	v_sub_f32_e32 v26, v30, v29
	v_add_f32_e32 v27, v31, v28
	v_lshl_add_u32 v2, v14, 5, 0
	v_fma_f32 v25, v3, 2.0, -v7
	v_fma_f32 v28, v30, 2.0, -v26
	;; [unrolled: 1-line block ×3, first 2 shown]
	v_add_u32_e32 v3, v2, v23
	v_cmp_gt_u32_e64 s[0:1], 20, v10
	ds_write2_b64 v3, v[24:25], v[28:29] offset1:1
	ds_write2_b64 v3, v[6:7], v[26:27] offset0:2 offset1:3
	s_and_saveexec_b64 s[4:5], s[0:1]
	s_cbranch_execz .LBB0_14
; %bb.13:
	v_sub_f32_e32 v3, v5, v9
	v_sub_f32_e32 v17, v0, v17
	v_add_f32_e32 v7, v3, v17
	v_sub_f32_e32 v18, v1, v18
	v_fma_f32 v9, v3, 2.0, -v7
	v_fma_f32 v3, v5, 2.0, -v3
	v_fma_f32 v1, v1, 2.0, -v18
	v_sub_f32_e32 v24, v4, v8
	v_sub_f32_e32 v1, v3, v1
	v_fma_f32 v5, v3, 2.0, -v1
	v_fma_f32 v3, v4, 2.0, -v24
	;; [unrolled: 1-line block ×3, first 2 shown]
	v_sub_f32_e32 v0, v3, v0
	v_sub_f32_e32 v6, v24, v18
	v_fma_f32 v4, v3, 2.0, -v0
	v_lshlrev_b32_e32 v3, 5, v16
	v_fma_f32 v8, v24, 2.0, -v6
	v_add3_u32 v3, 0, v3, v23
	ds_write2_b64 v3, v[4:5], v[8:9] offset1:1
	ds_write2_b64 v3, v[0:1], v[6:7] offset0:2 offset1:3
.LBB0_14:
	s_or_b64 exec, exec, s[4:5]
	v_and_b32_e32 v0, 3, v10
	v_mul_u32_u24_e32 v1, 9, v0
	v_lshlrev_b32_e32 v1, 3, v1
	s_waitcnt lgkmcnt(0)
	s_barrier
	global_load_dwordx4 v[3:6], v1, s[8:9] offset:16
	global_load_dwordx4 v[24:27], v1, s[8:9] offset:32
	;; [unrolled: 1-line block ×3, first 2 shown]
	global_load_dwordx4 v[32:35], v1, s[8:9]
	global_load_dwordx2 v[7:8], v1, s[8:9] offset:64
	v_lshlrev_b32_e32 v9, 3, v16
	ds_read2_b64 v[36:39], v21 offset0:120 offset1:160
	ds_read2_b64 v[40:43], v21 offset0:200 offset1:240
	;; [unrolled: 1-line block ×3, first 2 shown]
	v_mul_i32_i24_e32 v1, 0xffffffe8, v14
	v_add3_u32 v53, 0, v9, v23
	v_add3_u32 v52, v2, v1, v23
	ds_read_b64 v[1:2], v53
	ds_read_b64 v[17:18], v52
	ds_read_b64 v[48:49], v21 offset:2880
	ds_read_b64 v[50:51], v19
	s_mov_b32 s1, 0x3f737871
	s_mov_b32 s0, 0xbf737871
	;; [unrolled: 1-line block ×4, first 2 shown]
	s_waitcnt vmcnt(0) lgkmcnt(0)
	s_barrier
	v_mul_f32_e32 v9, v4, v37
	v_mul_f32_e32 v54, v4, v36
	;; [unrolled: 1-line block ×6, first 2 shown]
	v_fma_f32 v9, v3, v36, -v9
	v_fmac_f32_e32 v54, v3, v37
	v_fma_f32 v36, v5, v38, -v4
	v_mul_f32_e32 v3, v43, v27
	v_mul_f32_e32 v27, v42, v27
	;; [unrolled: 1-line block ×6, first 2 shown]
	v_fma_f32 v38, v24, v40, -v6
	v_mul_f32_e32 v6, v49, v8
	v_fmac_f32_e32 v55, v5, v39
	v_mul_f32_e32 v5, v47, v31
	v_mul_f32_e32 v31, v46, v31
	v_fmac_f32_e32 v25, v24, v41
	v_fma_f32 v24, v42, v26, -v3
	v_fmac_f32_e32 v27, v43, v26
	v_mul_f32_e32 v3, v35, v2
	v_mul_f32_e32 v26, v35, v1
	v_mul_f32_e32 v35, v48, v8
	v_fma_f32 v39, v44, v28, -v4
	v_fmac_f32_e32 v29, v45, v28
	v_fmac_f32_e32 v33, v32, v18
	v_fma_f32 v18, v48, v7, -v6
	v_fma_f32 v28, v46, v30, -v5
	v_fmac_f32_e32 v31, v47, v30
	v_fma_f32 v4, v32, v17, -v37
	v_fma_f32 v17, v34, v1, -v3
	v_fmac_f32_e32 v26, v34, v2
	v_fmac_f32_e32 v35, v49, v7
	v_add_f32_e32 v30, v38, v39
	v_add_f32_e32 v34, v9, v18
	v_sub_f32_e32 v37, v38, v9
	v_sub_f32_e32 v40, v39, v18
	v_add_f32_e32 v41, v25, v29
	v_add_f32_e32 v32, v4, v9
	;; [unrolled: 1-line block ×3, first 2 shown]
	v_sub_f32_e32 v44, v25, v54
	v_sub_f32_e32 v45, v29, v35
	v_fma_f32 v30, -0.5, v30, v4
	v_fmac_f32_e32 v4, -0.5, v34
	v_add_f32_e32 v34, v37, v40
	v_fma_f32 v37, -0.5, v41, v33
	v_sub_f32_e32 v41, v25, v29
	v_add_f32_e32 v42, v33, v54
	v_fmac_f32_e32 v33, -0.5, v43
	v_add_f32_e32 v40, v44, v45
	v_mov_b32_e32 v43, v4
	v_fmac_f32_e32 v4, 0x3f737871, v41
	v_sub_f32_e32 v44, v54, v35
	v_sub_f32_e32 v45, v38, v39
	v_fmac_f32_e32 v4, 0xbf167918, v44
	v_mov_b32_e32 v49, v33
	v_fmac_f32_e32 v33, 0xbf737871, v45
	v_sub_f32_e32 v56, v9, v18
	v_sub_f32_e32 v1, v36, v17
	;; [unrolled: 1-line block ×3, first 2 shown]
	v_fmac_f32_e32 v4, 0x3e9e377a, v34
	v_fmac_f32_e32 v33, 0x3f167918, v56
	v_add_f32_e32 v3, v55, v27
	v_add_f32_e32 v46, v1, v2
	v_fmac_f32_e32 v33, 0x3e9e377a, v40
	v_mul_f32_e32 v1, 0x3e9e377a, v4
	v_fma_f32 v47, -0.5, v3, v51
	v_fma_f32 v3, v33, s1, -v1
	v_mul_f32_e32 v1, 0x3e9e377a, v33
	v_add_f32_e32 v6, v26, v31
	v_fma_f32 v4, v4, s0, -v1
	v_add_f32_e32 v1, v17, v28
	v_add_f32_e32 v5, v51, v26
	v_fmac_f32_e32 v51, -0.5, v6
	v_fma_f32 v6, -0.5, v1, v50
	v_sub_f32_e32 v33, v55, v27
	v_mov_b32_e32 v57, v6
	v_fmac_f32_e32 v6, 0x3f737871, v33
	v_sub_f32_e32 v58, v26, v31
	v_sub_f32_e32 v59, v36, v24
	;; [unrolled: 1-line block ×4, first 2 shown]
	v_fmac_f32_e32 v6, 0xbf167918, v58
	v_mov_b32_e32 v60, v51
	v_fmac_f32_e32 v51, 0xbf737871, v59
	v_sub_f32_e32 v61, v17, v28
	v_add_f32_e32 v48, v7, v8
	v_fmac_f32_e32 v6, 0x3e9e377a, v46
	v_fmac_f32_e32 v51, 0x3f167918, v61
	v_add_f32_e32 v5, v5, v55
	v_fmac_f32_e32 v51, 0x3e9e377a, v48
	v_add_f32_e32 v1, v6, v3
	v_sub_f32_e32 v3, v6, v3
	v_add_f32_e32 v6, v36, v24
	v_add_f32_e32 v5, v5, v27
	;; [unrolled: 1-line block ×3, first 2 shown]
	v_sub_f32_e32 v4, v51, v4
	v_fma_f32 v51, -0.5, v6, v50
	v_add_f32_e32 v6, v50, v17
	v_add_f32_e32 v8, v5, v31
	;; [unrolled: 1-line block ×10, first 2 shown]
	v_sub_f32_e32 v17, v17, v36
	v_sub_f32_e32 v24, v28, v24
	v_add_f32_e32 v42, v5, v35
	v_add_f32_e32 v5, v7, v32
	v_sub_f32_e32 v7, v7, v32
	v_add_f32_e32 v32, v17, v24
	v_sub_f32_e32 v17, v26, v55
	v_sub_f32_e32 v24, v31, v27
	v_add_f32_e32 v31, v17, v24
	v_sub_f32_e32 v9, v9, v38
	;; [unrolled: 3-line block ×3, first 2 shown]
	v_sub_f32_e32 v18, v35, v29
	v_add_f32_e32 v35, v17, v18
	v_mov_b32_e32 v17, v30
	v_fmac_f32_e32 v30, 0xbf737871, v44
	v_fmac_f32_e32 v17, 0x3f737871, v44
	v_mov_b32_e32 v18, v37
	v_mov_b32_e32 v27, v47
	v_fmac_f32_e32 v30, 0xbf167918, v41
	v_fmac_f32_e32 v37, 0x3f737871, v56
	;; [unrolled: 1-line block ×3, first 2 shown]
	v_mov_b32_e32 v26, v51
	v_fmac_f32_e32 v27, 0xbf737871, v61
	v_fmac_f32_e32 v51, 0xbf737871, v58
	;; [unrolled: 1-line block ×11, first 2 shown]
	v_mul_f32_e32 v9, 0x3f4f1bbd, v30
	v_fmac_f32_e32 v18, 0xbf737871, v56
	v_fmac_f32_e32 v26, 0x3f167918, v33
	;; [unrolled: 1-line block ×5, first 2 shown]
	v_fma_f32 v9, v37, s5, -v9
	v_mul_f32_e32 v31, 0x3f4f1bbd, v37
	v_fmac_f32_e32 v18, 0xbf167918, v45
	v_fmac_f32_e32 v26, 0x3e9e377a, v32
	v_fmac_f32_e32 v57, 0xbf737871, v33
	v_fmac_f32_e32 v43, 0xbf737871, v41
	v_fmac_f32_e32 v49, 0x3f737871, v45
	v_fma_f32 v33, v30, s4, -v31
	v_add_f32_e32 v30, v51, v9
	v_sub_f32_e32 v32, v51, v9
	v_lshrrev_b32_e32 v9, 2, v10
	v_fmac_f32_e32 v18, 0x3e9e377a, v35
	v_fmac_f32_e32 v43, 0x3f167918, v44
	;; [unrolled: 1-line block ×3, first 2 shown]
	v_mul_u32_u24_e32 v9, 40, v9
	v_mul_f32_e32 v24, 0x3f167918, v18
	v_mul_f32_e32 v25, 0xbf167918, v17
	v_fmac_f32_e32 v60, 0x3f737871, v59
	v_fmac_f32_e32 v43, 0x3e9e377a, v34
	;; [unrolled: 1-line block ×3, first 2 shown]
	v_or_b32_e32 v0, v9, v0
	v_fmac_f32_e32 v24, 0x3f4f1bbd, v17
	v_fmac_f32_e32 v25, 0x3f4f1bbd, v18
	;; [unrolled: 1-line block ×4, first 2 shown]
	v_mul_f32_e32 v28, 0x3f737871, v49
	v_mul_f32_e32 v29, 0xbf737871, v43
	v_lshlrev_b32_e32 v0, 3, v0
	v_add_f32_e32 v6, v8, v42
	v_add_f32_e32 v17, v26, v24
	;; [unrolled: 1-line block ×3, first 2 shown]
	v_fmac_f32_e32 v57, 0x3e9e377a, v46
	v_fmac_f32_e32 v60, 0x3e9e377a, v48
	;; [unrolled: 1-line block ×4, first 2 shown]
	v_add3_u32 v0, 0, v0, v23
	v_sub_f32_e32 v8, v8, v42
	v_sub_f32_e32 v24, v26, v24
	;; [unrolled: 1-line block ×3, first 2 shown]
	v_add_f32_e32 v26, v57, v28
	v_add_f32_e32 v27, v60, v29
	v_sub_f32_e32 v28, v57, v28
	v_sub_f32_e32 v29, v60, v29
	v_add_f32_e32 v31, v47, v33
	v_sub_f32_e32 v33, v47, v33
	ds_write2_b64 v0, v[5:6], v[17:18] offset1:4
	ds_write2_b64 v0, v[26:27], v[1:2] offset0:8 offset1:12
	ds_write2_b64 v0, v[30:31], v[7:8] offset0:16 offset1:20
	;; [unrolled: 1-line block ×4, first 2 shown]
	v_mul_u32_u24_e32 v0, 9, v10
	v_lshlrev_b32_e32 v17, 3, v0
	s_waitcnt lgkmcnt(0)
	s_barrier
	global_load_dwordx4 v[0:3], v17, s[8:9] offset:304
	global_load_dwordx4 v[4:7], v17, s[8:9] offset:320
	global_load_dwordx4 v[23:26], v17, s[8:9] offset:336
	global_load_dwordx4 v[27:30], v17, s[8:9] offset:288
	global_load_dwordx2 v[8:9], v17, s[8:9] offset:352
	ds_read2_b64 v[31:34], v21 offset0:120 offset1:160
	ds_read2_b64 v[35:38], v21 offset0:200 offset1:240
	s_waitcnt vmcnt(4) lgkmcnt(1)
	v_mul_f32_e32 v17, v1, v32
	v_mul_f32_e32 v18, v1, v31
	v_fma_f32 v17, v0, v31, -v17
	v_fmac_f32_e32 v18, v0, v32
	v_mul_f32_e32 v0, v3, v34
	v_fma_f32 v31, v2, v33, -v0
	v_mul_f32_e32 v32, v3, v33
	s_waitcnt vmcnt(3) lgkmcnt(0)
	v_mul_f32_e32 v0, v5, v36
	v_fmac_f32_e32 v32, v2, v34
	v_fma_f32 v33, v4, v35, -v0
	ds_read2_b64 v[0:3], v11 offset0:24 offset1:64
	v_mul_f32_e32 v34, v5, v35
	v_fmac_f32_e32 v34, v4, v36
	v_mul_f32_e32 v4, v38, v7
	v_fma_f32 v35, v37, v6, -v4
	v_mul_f32_e32 v7, v37, v7
	s_waitcnt vmcnt(2) lgkmcnt(0)
	v_mul_f32_e32 v4, v1, v24
	v_fmac_f32_e32 v7, v38, v6
	v_fma_f32 v6, v0, v23, -v4
	v_mul_f32_e32 v24, v0, v24
	v_mul_f32_e32 v0, v3, v26
	v_fmac_f32_e32 v24, v1, v23
	v_fma_f32 v23, v2, v25, -v0
	ds_read_b64 v[0:1], v52
	v_mul_f32_e32 v26, v2, v26
	v_fmac_f32_e32 v26, v3, v25
	ds_read_b64 v[2:3], v53
	ds_read_b64 v[4:5], v21 offset:2880
	v_sub_f32_e32 v36, v35, v23
	s_waitcnt vmcnt(1) lgkmcnt(2)
	v_mul_f32_e32 v25, v28, v1
	v_fma_f32 v25, v27, v0, -v25
	v_mul_f32_e32 v28, v28, v0
	s_waitcnt lgkmcnt(1)
	v_mul_f32_e32 v0, v30, v3
	v_fmac_f32_e32 v28, v27, v1
	v_fma_f32 v27, v29, v2, -v0
	ds_read_b64 v[0:1], v19
	v_mul_f32_e32 v2, v30, v2
	v_fmac_f32_e32 v2, v29, v3
	s_waitcnt vmcnt(0) lgkmcnt(1)
	v_mul_f32_e32 v3, v5, v9
	v_fma_f32 v3, v4, v8, -v3
	v_mul_f32_e32 v4, v4, v9
	v_fmac_f32_e32 v4, v5, v8
	v_add_f32_e32 v5, v31, v35
	s_waitcnt lgkmcnt(0)
	v_fma_f32 v9, -0.5, v5, v0
	v_sub_f32_e32 v8, v27, v31
	v_sub_f32_e32 v29, v23, v35
	;; [unrolled: 1-line block ×3, first 2 shown]
	v_add_f32_e32 v8, v8, v29
	v_mov_b32_e32 v29, v9
	v_fmac_f32_e32 v29, 0x3f737871, v5
	v_sub_f32_e32 v30, v32, v7
	v_fmac_f32_e32 v9, 0xbf737871, v5
	v_fmac_f32_e32 v29, 0x3f167918, v30
	;; [unrolled: 1-line block ×5, first 2 shown]
	v_sub_f32_e32 v8, v31, v27
	v_add_f32_e32 v8, v8, v36
	v_add_f32_e32 v36, v27, v23
	v_fma_f32 v36, -0.5, v36, v0
	v_add_f32_e32 v0, v0, v27
	v_mov_b32_e32 v37, v36
	v_add_f32_e32 v0, v0, v31
	v_fmac_f32_e32 v37, 0xbf737871, v30
	v_fmac_f32_e32 v36, 0x3f737871, v30
	v_add_f32_e32 v0, v0, v35
	v_fmac_f32_e32 v37, 0x3f167918, v5
	v_fmac_f32_e32 v36, 0xbf167918, v5
	v_add_f32_e32 v0, v0, v23
	v_sub_f32_e32 v5, v27, v23
	v_sub_f32_e32 v23, v2, v32
	;; [unrolled: 1-line block ×3, first 2 shown]
	v_add_f32_e32 v23, v23, v27
	v_add_f32_e32 v27, v32, v7
	v_fmac_f32_e32 v37, 0x3e9e377a, v8
	v_fmac_f32_e32 v36, 0x3e9e377a, v8
	v_sub_f32_e32 v8, v31, v35
	v_fma_f32 v35, -0.5, v27, v1
	v_mov_b32_e32 v27, v35
	v_fmac_f32_e32 v27, 0xbf737871, v5
	v_fmac_f32_e32 v35, 0x3f737871, v5
	;; [unrolled: 1-line block ×4, first 2 shown]
	v_add_f32_e32 v30, v2, v26
	v_fmac_f32_e32 v27, 0x3e9e377a, v23
	v_fmac_f32_e32 v35, 0x3e9e377a, v23
	v_add_f32_e32 v23, v1, v2
	v_fmac_f32_e32 v1, -0.5, v30
	v_add_f32_e32 v23, v23, v32
	v_mov_b32_e32 v30, v1
	v_sub_f32_e32 v2, v32, v2
	v_add_f32_e32 v23, v23, v7
	v_sub_f32_e32 v7, v7, v26
	v_fmac_f32_e32 v30, 0x3f737871, v8
	v_fmac_f32_e32 v1, 0xbf737871, v8
	v_add_f32_e32 v2, v2, v7
	v_fmac_f32_e32 v30, 0xbf167918, v5
	v_fmac_f32_e32 v1, 0x3f167918, v5
	;; [unrolled: 1-line block ×4, first 2 shown]
	v_add_f32_e32 v2, v33, v6
	v_fma_f32 v5, -0.5, v2, v25
	v_sub_f32_e32 v2, v17, v33
	v_sub_f32_e32 v7, v3, v6
	v_add_f32_e32 v2, v2, v7
	v_sub_f32_e32 v7, v18, v4
	v_mov_b32_e32 v8, v5
	v_add_f32_e32 v23, v23, v26
	v_fmac_f32_e32 v8, 0x3f737871, v7
	v_sub_f32_e32 v26, v34, v24
	v_fmac_f32_e32 v5, 0xbf737871, v7
	v_fmac_f32_e32 v8, 0x3f167918, v26
	;; [unrolled: 1-line block ×3, first 2 shown]
	v_add_f32_e32 v31, v17, v3
	v_fmac_f32_e32 v8, 0x3e9e377a, v2
	v_fmac_f32_e32 v5, 0x3e9e377a, v2
	v_add_f32_e32 v2, v25, v17
	v_fmac_f32_e32 v25, -0.5, v31
	v_sub_f32_e32 v31, v33, v17
	v_sub_f32_e32 v32, v6, v3
	v_add_f32_e32 v31, v31, v32
	v_mov_b32_e32 v32, v25
	v_add_f32_e32 v2, v2, v33
	v_fmac_f32_e32 v32, 0xbf737871, v26
	v_fmac_f32_e32 v25, 0x3f737871, v26
	v_add_f32_e32 v2, v2, v6
	v_fmac_f32_e32 v32, 0x3f167918, v7
	v_fmac_f32_e32 v25, 0xbf167918, v7
	v_add_f32_e32 v26, v2, v3
	v_sub_f32_e32 v2, v17, v3
	v_sub_f32_e32 v3, v33, v6
	;; [unrolled: 1-line block ×4, first 2 shown]
	v_add_f32_e32 v6, v6, v7
	v_add_f32_e32 v7, v34, v24
	v_fma_f32 v7, -0.5, v7, v28
	v_mov_b32_e32 v17, v7
	v_fmac_f32_e32 v17, 0xbf737871, v2
	v_fmac_f32_e32 v7, 0x3f737871, v2
	;; [unrolled: 1-line block ×6, first 2 shown]
	v_add_f32_e32 v6, v28, v18
	v_fmac_f32_e32 v32, 0x3e9e377a, v31
	v_fmac_f32_e32 v25, 0x3e9e377a, v31
	v_add_f32_e32 v31, v18, v4
	v_add_f32_e32 v6, v6, v34
	v_fmac_f32_e32 v28, -0.5, v31
	v_add_f32_e32 v6, v6, v24
	v_add_f32_e32 v31, v6, v4
	v_mov_b32_e32 v6, v28
	v_sub_f32_e32 v18, v34, v18
	v_sub_f32_e32 v4, v24, v4
	v_fmac_f32_e32 v6, 0x3f737871, v3
	v_fmac_f32_e32 v28, 0xbf737871, v3
	v_add_f32_e32 v4, v18, v4
	v_fmac_f32_e32 v6, 0xbf167918, v2
	v_fmac_f32_e32 v28, 0x3f167918, v2
	;; [unrolled: 1-line block ×4, first 2 shown]
	v_mul_f32_e32 v2, 0x3e9e377a, v25
	v_mul_f32_e32 v33, 0x3f737871, v6
	v_fma_f32 v3, v28, s1, -v2
	v_mul_f32_e32 v2, 0x3f4f1bbd, v5
	v_mul_f32_e32 v24, 0x3f167918, v17
	v_fmac_f32_e32 v33, 0x3e9e377a, v32
	v_mul_f32_e32 v34, 0xbf167918, v8
	v_fma_f32 v38, v7, s5, -v2
	v_mul_f32_e32 v32, 0xbf737871, v32
	v_mul_f32_e32 v2, 0x3e9e377a, v28
	v_fmac_f32_e32 v24, 0x3f4f1bbd, v8
	v_fmac_f32_e32 v34, 0x3f4f1bbd, v17
	;; [unrolled: 1-line block ×3, first 2 shown]
	v_fma_f32 v4, v25, s0, -v2
	v_mul_f32_e32 v6, 0x3f4f1bbd, v7
	v_add_f32_e32 v2, v1, v4
	v_fma_f32 v39, v5, s4, -v6
	v_sub_f32_e32 v4, v1, v4
	v_add_f32_e32 v5, v0, v26
	v_add_f32_e32 v7, v29, v24
	;; [unrolled: 1-line block ×5, first 2 shown]
	v_sub_f32_e32 v3, v36, v3
	v_sub_f32_e32 v17, v0, v26
	;; [unrolled: 1-line block ×3, first 2 shown]
	v_add_f32_e32 v23, v37, v33
	v_sub_f32_e32 v25, v29, v24
	v_sub_f32_e32 v26, v27, v34
	v_add_f32_e32 v27, v9, v38
	v_add_f32_e32 v24, v30, v32
	;; [unrolled: 1-line block ×3, first 2 shown]
	v_sub_f32_e32 v29, v37, v33
	v_sub_f32_e32 v31, v9, v38
	;; [unrolled: 1-line block ×4, first 2 shown]
	s_barrier
	ds_write2_b64 v21, v[5:6], v[7:8] offset1:40
	ds_write2_b64 v21, v[23:24], v[1:2] offset0:80 offset1:120
	ds_write2_b64 v21, v[27:28], v[17:18] offset0:160 offset1:200
	;; [unrolled: 1-line block ×4, first 2 shown]
	s_waitcnt lgkmcnt(0)
	s_barrier
	ds_read_b64 v[4:5], v19
	v_sub_u32_e32 v6, v20, v15
	v_cmp_ne_u32_e64 s[0:1], 0, v10
                                        ; implicit-def: $vgpr0
                                        ; implicit-def: $vgpr7
                                        ; implicit-def: $vgpr8
                                        ; implicit-def: $vgpr2_vgpr3
	s_and_saveexec_b64 s[4:5], s[0:1]
	s_xor_b64 s[4:5], exec, s[4:5]
	s_cbranch_execz .LBB0_16
; %bb.15:
	v_mov_b32_e32 v11, 0
	v_lshlrev_b64 v[0:1], 3, v[10:11]
	v_mov_b32_e32 v2, s9
	v_add_co_u32_e64 v0, s[0:1], s8, v0
	v_addc_co_u32_e64 v1, s[0:1], v2, v1, s[0:1]
	global_load_dwordx2 v[0:1], v[0:1], off offset:3168
	ds_read_b64 v[2:3], v6 offset:3200
	s_waitcnt lgkmcnt(0)
	v_add_f32_e32 v9, v2, v4
	v_sub_f32_e32 v2, v4, v2
	v_add_f32_e32 v7, v3, v5
	v_sub_f32_e32 v3, v5, v3
	v_mul_f32_e32 v2, 0.5, v2
	v_mul_f32_e32 v4, 0.5, v7
	v_mul_f32_e32 v3, 0.5, v3
	s_waitcnt vmcnt(0)
	v_mul_f32_e32 v5, v1, v2
	v_fma_f32 v8, v4, v1, v3
	v_fma_f32 v1, v4, v1, -v3
	v_fma_f32 v7, 0.5, v9, v5
	v_fma_f32 v3, v9, 0.5, -v5
	v_fma_f32 v8, -v0, v2, v8
	v_fma_f32 v1, -v0, v2, v1
	v_fmac_f32_e32 v7, v0, v4
	v_fma_f32 v0, -v0, v4, v3
	v_mov_b32_e32 v2, v10
	v_mov_b32_e32 v3, v11
                                        ; implicit-def: $vgpr4_vgpr5
.LBB0_16:
	s_andn2_saveexec_b64 s[0:1], s[4:5]
	s_cbranch_execz .LBB0_18
; %bb.17:
	ds_read_b32 v1, v20 offset:1604
	v_mov_b32_e32 v2, 0
	s_waitcnt lgkmcnt(1)
	v_add_f32_e32 v7, v4, v5
	v_sub_f32_e32 v0, v4, v5
	v_mov_b32_e32 v3, 0
	s_waitcnt lgkmcnt(0)
	v_xor_b32_e32 v1, 0x80000000, v1
	v_mov_b32_e32 v8, 0
	ds_write_b32 v20, v1 offset:1604
	v_mov_b32_e32 v1, 0
.LBB0_18:
	s_or_b64 exec, exec, s[0:1]
	v_mov_b32_e32 v15, 0
	s_waitcnt lgkmcnt(0)
	v_lshlrev_b64 v[4:5], 3, v[14:15]
	v_mov_b32_e32 v9, s9
	v_add_co_u32_e64 v4, s[0:1], s8, v4
	v_addc_co_u32_e64 v5, s[0:1], v9, v5, s[0:1]
	global_load_dwordx2 v[4:5], v[4:5], off offset:3168
	v_mov_b32_e32 v17, v15
	v_lshlrev_b64 v[17:18], 3, v[16:17]
	v_lshlrev_b64 v[2:3], 3, v[2:3]
	v_add_co_u32_e64 v17, s[0:1], s8, v17
	v_addc_co_u32_e64 v18, s[0:1], v9, v18, s[0:1]
	global_load_dwordx2 v[17:18], v[17:18], off offset:3168
	s_add_u32 s0, s8, 0xc60
	s_addc_u32 s1, s9, 0
	v_mov_b32_e32 v9, s1
	v_add_co_u32_e64 v21, s[0:1], s0, v2
	v_addc_co_u32_e64 v22, s[0:1], v9, v3, s[0:1]
	global_load_dwordx2 v[23:24], v[21:22], off offset:960
	ds_write2_b32 v19, v7, v8 offset1:1
	ds_write_b64 v6, v[0:1] offset:3200
	v_lshl_add_u32 v9, v14, 3, v20
	ds_read_b64 v[0:1], v9
	ds_read_b64 v[7:8], v6 offset:2880
	global_load_dwordx2 v[14:15], v[21:22], off offset:1280
	v_lshl_add_u32 v11, v16, 3, v20
	s_waitcnt lgkmcnt(0)
	v_add_f32_e32 v16, v0, v7
	v_sub_f32_e32 v0, v0, v7
	v_add_f32_e32 v20, v1, v8
	v_sub_f32_e32 v1, v1, v8
	v_mul_f32_e32 v0, 0.5, v0
	v_mul_f32_e32 v7, 0.5, v20
	;; [unrolled: 1-line block ×3, first 2 shown]
	s_waitcnt vmcnt(3)
	v_mul_f32_e32 v8, v5, v0
	v_fma_f32 v20, v7, v5, v1
	v_fma_f32 v1, v7, v5, -v1
	v_fma_f32 v5, 0.5, v16, v8
	v_fma_f32 v20, -v4, v0, v20
	v_fma_f32 v8, v16, 0.5, -v8
	v_fmac_f32_e32 v5, v4, v7
	v_fma_f32 v1, -v4, v0, v1
	v_fma_f32 v0, -v4, v7, v8
	ds_write2_b32 v9, v5, v20 offset1:1
	ds_write_b64 v6, v[0:1] offset:2880
	ds_read_b64 v[0:1], v11
	ds_read_b64 v[4:5], v6 offset:2560
	s_waitcnt lgkmcnt(0)
	v_add_f32_e32 v7, v0, v4
	v_sub_f32_e32 v0, v0, v4
	v_add_f32_e32 v8, v1, v5
	v_sub_f32_e32 v1, v1, v5
	v_mul_f32_e32 v0, 0.5, v0
	v_mul_f32_e32 v4, 0.5, v8
	;; [unrolled: 1-line block ×3, first 2 shown]
	s_waitcnt vmcnt(2)
	v_mul_f32_e32 v5, v18, v0
	v_fma_f32 v8, v4, v18, v1
	v_fma_f32 v9, 0.5, v7, v5
	v_fma_f32 v1, v4, v18, -v1
	v_fma_f32 v8, -v17, v0, v8
	v_fma_f32 v5, v7, 0.5, -v5
	v_fmac_f32_e32 v9, v17, v4
	v_fma_f32 v1, -v17, v0, v1
	v_fma_f32 v0, -v17, v4, v5
	ds_write2_b32 v11, v9, v8 offset1:1
	ds_write_b64 v6, v[0:1] offset:2560
	ds_read_b64 v[0:1], v19 offset:960
	ds_read_b64 v[4:5], v6 offset:2240
	s_waitcnt lgkmcnt(0)
	v_add_f32_e32 v7, v0, v4
	v_sub_f32_e32 v0, v0, v4
	v_add_f32_e32 v8, v1, v5
	v_sub_f32_e32 v1, v1, v5
	v_mul_f32_e32 v0, 0.5, v0
	v_mul_f32_e32 v4, 0.5, v8
	;; [unrolled: 1-line block ×3, first 2 shown]
	s_waitcnt vmcnt(1)
	v_mul_f32_e32 v5, v24, v0
	v_fma_f32 v8, v4, v24, v1
	v_fma_f32 v9, 0.5, v7, v5
	v_fma_f32 v1, v4, v24, -v1
	v_fma_f32 v8, -v23, v0, v8
	v_fma_f32 v5, v7, 0.5, -v5
	v_fmac_f32_e32 v9, v23, v4
	v_fma_f32 v1, -v23, v0, v1
	v_fma_f32 v0, -v23, v4, v5
	ds_write2_b32 v19, v9, v8 offset0:240 offset1:241
	ds_write_b64 v6, v[0:1] offset:2240
	ds_read_b64 v[0:1], v19 offset:1280
	ds_read_b64 v[7:8], v6 offset:1920
	v_add_u32_e32 v4, 0x400, v19
	s_waitcnt lgkmcnt(0)
	v_add_f32_e32 v5, v0, v7
	v_sub_f32_e32 v0, v0, v7
	v_add_f32_e32 v9, v1, v8
	v_sub_f32_e32 v1, v1, v8
	v_mul_f32_e32 v0, 0.5, v0
	v_mul_f32_e32 v7, 0.5, v9
	;; [unrolled: 1-line block ×3, first 2 shown]
	s_waitcnt vmcnt(0)
	v_mul_f32_e32 v8, v15, v0
	v_fma_f32 v9, v7, v15, v1
	v_fma_f32 v11, 0.5, v5, v8
	v_fma_f32 v1, v7, v15, -v1
	v_fma_f32 v9, -v14, v0, v9
	v_fma_f32 v5, v5, 0.5, -v8
	v_fmac_f32_e32 v11, v14, v7
	v_fma_f32 v1, -v14, v0, v1
	v_fma_f32 v0, -v14, v7, v5
	ds_write2_b32 v4, v11, v9 offset0:64 offset1:65
	ds_write_b64 v6, v[0:1] offset:1920
	s_waitcnt lgkmcnt(0)
	s_barrier
	s_and_saveexec_b64 s[0:1], vcc
	s_cbranch_execz .LBB0_21
; %bb.19:
	ds_read2_b64 v[5:8], v19 offset1:40
	v_mov_b32_e32 v1, s3
	v_add_co_u32_e32 v0, vcc, s2, v12
	v_addc_co_u32_e32 v1, vcc, v1, v13, vcc
	ds_read2_b64 v[11:14], v19 offset0:80 offset1:120
	v_add_co_u32_e32 v2, vcc, v0, v2
	v_addc_co_u32_e32 v3, vcc, v1, v3, vcc
	s_waitcnt lgkmcnt(1)
	global_store_dwordx2 v[2:3], v[5:6], off
	global_store_dwordx2 v[2:3], v[7:8], off offset:320
	s_waitcnt lgkmcnt(0)
	global_store_dwordx2 v[2:3], v[11:12], off offset:640
	ds_read2_b64 v[5:8], v19 offset0:160 offset1:200
	global_store_dwordx2 v[2:3], v[13:14], off offset:960
	ds_read2_b64 v[11:14], v4 offset0:112 offset1:152
	v_add_u32_e32 v4, 0x800, v19
	ds_read2_b64 v[15:18], v4 offset0:64 offset1:104
	v_cmp_eq_u32_e32 vcc, 39, v10
	s_waitcnt lgkmcnt(2)
	global_store_dwordx2 v[2:3], v[5:6], off offset:1280
	global_store_dwordx2 v[2:3], v[7:8], off offset:1600
	s_waitcnt lgkmcnt(1)
	global_store_dwordx2 v[2:3], v[11:12], off offset:1920
	global_store_dwordx2 v[2:3], v[13:14], off offset:2240
	;; [unrolled: 3-line block ×3, first 2 shown]
	s_and_b64 exec, exec, vcc
	s_cbranch_execz .LBB0_21
; %bb.20:
	ds_read_b64 v[2:3], v19 offset:2888
	s_waitcnt lgkmcnt(0)
	global_store_dwordx2 v[0:1], v[2:3], off offset:3200
.LBB0_21:
	s_endpgm
	.section	.rodata,"a",@progbits
	.p2align	6, 0x0
	.amdhsa_kernel fft_rtc_fwd_len400_factors_4_10_10_wgs_120_tpt_40_halfLds_sp_ip_CI_unitstride_sbrr_R2C_dirReg
		.amdhsa_group_segment_fixed_size 0
		.amdhsa_private_segment_fixed_size 0
		.amdhsa_kernarg_size 88
		.amdhsa_user_sgpr_count 6
		.amdhsa_user_sgpr_private_segment_buffer 1
		.amdhsa_user_sgpr_dispatch_ptr 0
		.amdhsa_user_sgpr_queue_ptr 0
		.amdhsa_user_sgpr_kernarg_segment_ptr 1
		.amdhsa_user_sgpr_dispatch_id 0
		.amdhsa_user_sgpr_flat_scratch_init 0
		.amdhsa_user_sgpr_private_segment_size 0
		.amdhsa_uses_dynamic_stack 0
		.amdhsa_system_sgpr_private_segment_wavefront_offset 0
		.amdhsa_system_sgpr_workgroup_id_x 1
		.amdhsa_system_sgpr_workgroup_id_y 0
		.amdhsa_system_sgpr_workgroup_id_z 0
		.amdhsa_system_sgpr_workgroup_info 0
		.amdhsa_system_vgpr_workitem_id 0
		.amdhsa_next_free_vgpr 62
		.amdhsa_next_free_sgpr 22
		.amdhsa_reserve_vcc 1
		.amdhsa_reserve_flat_scratch 0
		.amdhsa_float_round_mode_32 0
		.amdhsa_float_round_mode_16_64 0
		.amdhsa_float_denorm_mode_32 3
		.amdhsa_float_denorm_mode_16_64 3
		.amdhsa_dx10_clamp 1
		.amdhsa_ieee_mode 1
		.amdhsa_fp16_overflow 0
		.amdhsa_exception_fp_ieee_invalid_op 0
		.amdhsa_exception_fp_denorm_src 0
		.amdhsa_exception_fp_ieee_div_zero 0
		.amdhsa_exception_fp_ieee_overflow 0
		.amdhsa_exception_fp_ieee_underflow 0
		.amdhsa_exception_fp_ieee_inexact 0
		.amdhsa_exception_int_div_zero 0
	.end_amdhsa_kernel
	.text
.Lfunc_end0:
	.size	fft_rtc_fwd_len400_factors_4_10_10_wgs_120_tpt_40_halfLds_sp_ip_CI_unitstride_sbrr_R2C_dirReg, .Lfunc_end0-fft_rtc_fwd_len400_factors_4_10_10_wgs_120_tpt_40_halfLds_sp_ip_CI_unitstride_sbrr_R2C_dirReg
                                        ; -- End function
	.section	.AMDGPU.csdata,"",@progbits
; Kernel info:
; codeLenInByte = 5724
; NumSgprs: 26
; NumVgprs: 62
; ScratchSize: 0
; MemoryBound: 0
; FloatMode: 240
; IeeeMode: 1
; LDSByteSize: 0 bytes/workgroup (compile time only)
; SGPRBlocks: 3
; VGPRBlocks: 15
; NumSGPRsForWavesPerEU: 26
; NumVGPRsForWavesPerEU: 62
; Occupancy: 4
; WaveLimiterHint : 1
; COMPUTE_PGM_RSRC2:SCRATCH_EN: 0
; COMPUTE_PGM_RSRC2:USER_SGPR: 6
; COMPUTE_PGM_RSRC2:TRAP_HANDLER: 0
; COMPUTE_PGM_RSRC2:TGID_X_EN: 1
; COMPUTE_PGM_RSRC2:TGID_Y_EN: 0
; COMPUTE_PGM_RSRC2:TGID_Z_EN: 0
; COMPUTE_PGM_RSRC2:TIDIG_COMP_CNT: 0
	.type	__hip_cuid_82c5803db01e6f89,@object ; @__hip_cuid_82c5803db01e6f89
	.section	.bss,"aw",@nobits
	.globl	__hip_cuid_82c5803db01e6f89
__hip_cuid_82c5803db01e6f89:
	.byte	0                               ; 0x0
	.size	__hip_cuid_82c5803db01e6f89, 1

	.ident	"AMD clang version 19.0.0git (https://github.com/RadeonOpenCompute/llvm-project roc-6.4.0 25133 c7fe45cf4b819c5991fe208aaa96edf142730f1d)"
	.section	".note.GNU-stack","",@progbits
	.addrsig
	.addrsig_sym __hip_cuid_82c5803db01e6f89
	.amdgpu_metadata
---
amdhsa.kernels:
  - .args:
      - .actual_access:  read_only
        .address_space:  global
        .offset:         0
        .size:           8
        .value_kind:     global_buffer
      - .offset:         8
        .size:           8
        .value_kind:     by_value
      - .actual_access:  read_only
        .address_space:  global
        .offset:         16
        .size:           8
        .value_kind:     global_buffer
      - .actual_access:  read_only
        .address_space:  global
        .offset:         24
        .size:           8
        .value_kind:     global_buffer
      - .offset:         32
        .size:           8
        .value_kind:     by_value
      - .actual_access:  read_only
        .address_space:  global
        .offset:         40
        .size:           8
        .value_kind:     global_buffer
      - .actual_access:  read_only
        .address_space:  global
        .offset:         48
        .size:           8
        .value_kind:     global_buffer
      - .offset:         56
        .size:           4
        .value_kind:     by_value
      - .actual_access:  read_only
        .address_space:  global
        .offset:         64
        .size:           8
        .value_kind:     global_buffer
      - .actual_access:  read_only
        .address_space:  global
        .offset:         72
        .size:           8
        .value_kind:     global_buffer
      - .address_space:  global
        .offset:         80
        .size:           8
        .value_kind:     global_buffer
    .group_segment_fixed_size: 0
    .kernarg_segment_align: 8
    .kernarg_segment_size: 88
    .language:       OpenCL C
    .language_version:
      - 2
      - 0
    .max_flat_workgroup_size: 120
    .name:           fft_rtc_fwd_len400_factors_4_10_10_wgs_120_tpt_40_halfLds_sp_ip_CI_unitstride_sbrr_R2C_dirReg
    .private_segment_fixed_size: 0
    .sgpr_count:     26
    .sgpr_spill_count: 0
    .symbol:         fft_rtc_fwd_len400_factors_4_10_10_wgs_120_tpt_40_halfLds_sp_ip_CI_unitstride_sbrr_R2C_dirReg.kd
    .uniform_work_group_size: 1
    .uses_dynamic_stack: false
    .vgpr_count:     62
    .vgpr_spill_count: 0
    .wavefront_size: 64
amdhsa.target:   amdgcn-amd-amdhsa--gfx906
amdhsa.version:
  - 1
  - 2
...

	.end_amdgpu_metadata
